;; amdgpu-corpus repo=ROCm/rocFFT kind=compiled arch=gfx906 opt=O3
	.text
	.amdgcn_target "amdgcn-amd-amdhsa--gfx906"
	.amdhsa_code_object_version 6
	.protected	fft_rtc_back_len432_factors_3_16_3_3_wgs_54_tpt_27_halfLds_dp_op_CI_CI_unitstride_sbrr_C2R_dirReg ; -- Begin function fft_rtc_back_len432_factors_3_16_3_3_wgs_54_tpt_27_halfLds_dp_op_CI_CI_unitstride_sbrr_C2R_dirReg
	.globl	fft_rtc_back_len432_factors_3_16_3_3_wgs_54_tpt_27_halfLds_dp_op_CI_CI_unitstride_sbrr_C2R_dirReg
	.p2align	8
	.type	fft_rtc_back_len432_factors_3_16_3_3_wgs_54_tpt_27_halfLds_dp_op_CI_CI_unitstride_sbrr_C2R_dirReg,@function
fft_rtc_back_len432_factors_3_16_3_3_wgs_54_tpt_27_halfLds_dp_op_CI_CI_unitstride_sbrr_C2R_dirReg: ; @fft_rtc_back_len432_factors_3_16_3_3_wgs_54_tpt_27_halfLds_dp_op_CI_CI_unitstride_sbrr_C2R_dirReg
; %bb.0:
	s_load_dwordx4 s[8:11], s[4:5], 0x58
	s_load_dwordx4 s[12:15], s[4:5], 0x0
	;; [unrolled: 1-line block ×3, first 2 shown]
	v_mul_u32_u24_e32 v1, 0x97c, v0
	v_lshrrev_b32_e32 v7, 16, v1
	v_mov_b32_e32 v3, 0
	s_waitcnt lgkmcnt(0)
	v_cmp_lt_u64_e64 s[0:1], s[14:15], 2
	v_mov_b32_e32 v1, 0
	v_lshl_add_u32 v5, s6, 1, v7
	v_mov_b32_e32 v6, v3
	s_and_b64 vcc, exec, s[0:1]
	v_mov_b32_e32 v2, 0
	s_cbranch_vccnz .LBB0_8
; %bb.1:
	s_load_dwordx2 s[0:1], s[4:5], 0x10
	s_add_u32 s2, s18, 8
	s_addc_u32 s3, s19, 0
	s_add_u32 s6, s16, 8
	v_mov_b32_e32 v1, 0
	s_addc_u32 s7, s17, 0
	v_mov_b32_e32 v2, 0
	s_waitcnt lgkmcnt(0)
	s_add_u32 s20, s0, 8
	v_mov_b32_e32 v73, v2
	s_addc_u32 s21, s1, 0
	s_mov_b64 s[22:23], 1
	v_mov_b32_e32 v72, v1
.LBB0_2:                                ; =>This Inner Loop Header: Depth=1
	s_load_dwordx2 s[24:25], s[20:21], 0x0
                                        ; implicit-def: $vgpr76_vgpr77
	s_waitcnt lgkmcnt(0)
	v_or_b32_e32 v4, s25, v6
	v_cmp_ne_u64_e32 vcc, 0, v[3:4]
	s_and_saveexec_b64 s[0:1], vcc
	s_xor_b64 s[26:27], exec, s[0:1]
	s_cbranch_execz .LBB0_4
; %bb.3:                                ;   in Loop: Header=BB0_2 Depth=1
	v_cvt_f32_u32_e32 v4, s24
	v_cvt_f32_u32_e32 v8, s25
	s_sub_u32 s0, 0, s24
	s_subb_u32 s1, 0, s25
	v_mac_f32_e32 v4, 0x4f800000, v8
	v_rcp_f32_e32 v4, v4
	v_mul_f32_e32 v4, 0x5f7ffffc, v4
	v_mul_f32_e32 v8, 0x2f800000, v4
	v_trunc_f32_e32 v8, v8
	v_mac_f32_e32 v4, 0xcf800000, v8
	v_cvt_u32_f32_e32 v8, v8
	v_cvt_u32_f32_e32 v4, v4
	v_mul_lo_u32 v9, s0, v8
	v_mul_hi_u32 v10, s0, v4
	v_mul_lo_u32 v12, s1, v4
	v_mul_lo_u32 v11, s0, v4
	v_add_u32_e32 v9, v10, v9
	v_add_u32_e32 v9, v9, v12
	v_mul_hi_u32 v10, v4, v11
	v_mul_lo_u32 v12, v4, v9
	v_mul_hi_u32 v14, v4, v9
	v_mul_hi_u32 v13, v8, v11
	v_mul_lo_u32 v11, v8, v11
	v_mul_hi_u32 v15, v8, v9
	v_add_co_u32_e32 v10, vcc, v10, v12
	v_addc_co_u32_e32 v12, vcc, 0, v14, vcc
	v_mul_lo_u32 v9, v8, v9
	v_add_co_u32_e32 v10, vcc, v10, v11
	v_addc_co_u32_e32 v10, vcc, v12, v13, vcc
	v_addc_co_u32_e32 v11, vcc, 0, v15, vcc
	v_add_co_u32_e32 v9, vcc, v10, v9
	v_addc_co_u32_e32 v10, vcc, 0, v11, vcc
	v_add_co_u32_e32 v4, vcc, v4, v9
	v_addc_co_u32_e32 v8, vcc, v8, v10, vcc
	v_mul_lo_u32 v9, s0, v8
	v_mul_hi_u32 v10, s0, v4
	v_mul_lo_u32 v11, s1, v4
	v_mul_lo_u32 v12, s0, v4
	v_add_u32_e32 v9, v10, v9
	v_add_u32_e32 v9, v9, v11
	v_mul_lo_u32 v13, v4, v9
	v_mul_hi_u32 v14, v4, v12
	v_mul_hi_u32 v15, v4, v9
	;; [unrolled: 1-line block ×3, first 2 shown]
	v_mul_lo_u32 v12, v8, v12
	v_mul_hi_u32 v10, v8, v9
	v_add_co_u32_e32 v13, vcc, v14, v13
	v_addc_co_u32_e32 v14, vcc, 0, v15, vcc
	v_mul_lo_u32 v9, v8, v9
	v_add_co_u32_e32 v12, vcc, v13, v12
	v_addc_co_u32_e32 v11, vcc, v14, v11, vcc
	v_addc_co_u32_e32 v10, vcc, 0, v10, vcc
	v_add_co_u32_e32 v9, vcc, v11, v9
	v_addc_co_u32_e32 v10, vcc, 0, v10, vcc
	v_add_co_u32_e32 v4, vcc, v4, v9
	v_addc_co_u32_e32 v10, vcc, v8, v10, vcc
	v_mad_u64_u32 v[8:9], s[0:1], v5, v10, 0
	v_mul_hi_u32 v11, v5, v4
	v_add_co_u32_e32 v12, vcc, v11, v8
	v_addc_co_u32_e32 v13, vcc, 0, v9, vcc
	v_mad_u64_u32 v[8:9], s[0:1], v6, v4, 0
	v_mad_u64_u32 v[10:11], s[0:1], v6, v10, 0
	v_add_co_u32_e32 v4, vcc, v12, v8
	v_addc_co_u32_e32 v4, vcc, v13, v9, vcc
	v_addc_co_u32_e32 v8, vcc, 0, v11, vcc
	v_add_co_u32_e32 v4, vcc, v4, v10
	v_addc_co_u32_e32 v10, vcc, 0, v8, vcc
	v_mul_lo_u32 v11, s25, v4
	v_mul_lo_u32 v12, s24, v10
	v_mad_u64_u32 v[8:9], s[0:1], s24, v4, 0
	v_add3_u32 v9, v9, v12, v11
	v_sub_u32_e32 v11, v6, v9
	v_mov_b32_e32 v12, s25
	v_sub_co_u32_e32 v8, vcc, v5, v8
	v_subb_co_u32_e64 v11, s[0:1], v11, v12, vcc
	v_subrev_co_u32_e64 v12, s[0:1], s24, v8
	v_subbrev_co_u32_e64 v11, s[0:1], 0, v11, s[0:1]
	v_cmp_le_u32_e64 s[0:1], s25, v11
	v_cndmask_b32_e64 v13, 0, -1, s[0:1]
	v_cmp_le_u32_e64 s[0:1], s24, v12
	v_cndmask_b32_e64 v12, 0, -1, s[0:1]
	v_cmp_eq_u32_e64 s[0:1], s25, v11
	v_cndmask_b32_e64 v11, v13, v12, s[0:1]
	v_add_co_u32_e64 v12, s[0:1], 2, v4
	v_addc_co_u32_e64 v13, s[0:1], 0, v10, s[0:1]
	v_add_co_u32_e64 v14, s[0:1], 1, v4
	v_addc_co_u32_e64 v15, s[0:1], 0, v10, s[0:1]
	v_subb_co_u32_e32 v9, vcc, v6, v9, vcc
	v_cmp_ne_u32_e64 s[0:1], 0, v11
	v_cmp_le_u32_e32 vcc, s25, v9
	v_cndmask_b32_e64 v11, v15, v13, s[0:1]
	v_cndmask_b32_e64 v13, 0, -1, vcc
	v_cmp_le_u32_e32 vcc, s24, v8
	v_cndmask_b32_e64 v8, 0, -1, vcc
	v_cmp_eq_u32_e32 vcc, s25, v9
	v_cndmask_b32_e32 v8, v13, v8, vcc
	v_cmp_ne_u32_e32 vcc, 0, v8
	v_cndmask_b32_e64 v8, v14, v12, s[0:1]
	v_cndmask_b32_e32 v77, v10, v11, vcc
	v_cndmask_b32_e32 v76, v4, v8, vcc
.LBB0_4:                                ;   in Loop: Header=BB0_2 Depth=1
	s_andn2_saveexec_b64 s[0:1], s[26:27]
	s_cbranch_execz .LBB0_6
; %bb.5:                                ;   in Loop: Header=BB0_2 Depth=1
	v_cvt_f32_u32_e32 v4, s24
	s_sub_i32 s26, 0, s24
	v_mov_b32_e32 v77, v3
	v_rcp_iflag_f32_e32 v4, v4
	v_mul_f32_e32 v4, 0x4f7ffffe, v4
	v_cvt_u32_f32_e32 v4, v4
	v_mul_lo_u32 v8, s26, v4
	v_mul_hi_u32 v8, v4, v8
	v_add_u32_e32 v4, v4, v8
	v_mul_hi_u32 v4, v5, v4
	v_mul_lo_u32 v8, v4, s24
	v_add_u32_e32 v9, 1, v4
	v_sub_u32_e32 v8, v5, v8
	v_subrev_u32_e32 v10, s24, v8
	v_cmp_le_u32_e32 vcc, s24, v8
	v_cndmask_b32_e32 v8, v8, v10, vcc
	v_cndmask_b32_e32 v4, v4, v9, vcc
	v_add_u32_e32 v9, 1, v4
	v_cmp_le_u32_e32 vcc, s24, v8
	v_cndmask_b32_e32 v76, v4, v9, vcc
.LBB0_6:                                ;   in Loop: Header=BB0_2 Depth=1
	s_or_b64 exec, exec, s[0:1]
	v_mul_lo_u32 v4, v77, s24
	v_mul_lo_u32 v10, v76, s25
	v_mad_u64_u32 v[8:9], s[0:1], v76, s24, 0
	s_load_dwordx2 s[0:1], s[6:7], 0x0
	s_load_dwordx2 s[24:25], s[2:3], 0x0
	v_add3_u32 v4, v9, v10, v4
	v_sub_co_u32_e32 v5, vcc, v5, v8
	v_subb_co_u32_e32 v4, vcc, v6, v4, vcc
	s_waitcnt lgkmcnt(0)
	v_mul_lo_u32 v6, s0, v4
	v_mul_lo_u32 v8, s1, v5
	v_mad_u64_u32 v[1:2], s[0:1], s0, v5, v[1:2]
	v_mul_lo_u32 v4, s24, v4
	v_mul_lo_u32 v9, s25, v5
	v_mad_u64_u32 v[72:73], s[0:1], s24, v5, v[72:73]
	s_add_u32 s22, s22, 1
	s_addc_u32 s23, s23, 0
	s_add_u32 s2, s2, 8
	v_add3_u32 v73, v9, v73, v4
	s_addc_u32 s3, s3, 0
	v_mov_b32_e32 v4, s14
	s_add_u32 s6, s6, 8
	v_mov_b32_e32 v5, s15
	s_addc_u32 s7, s7, 0
	v_cmp_ge_u64_e32 vcc, s[22:23], v[4:5]
	s_add_u32 s20, s20, 8
	v_add3_u32 v2, v8, v2, v6
	s_addc_u32 s21, s21, 0
	s_cbranch_vccnz .LBB0_9
; %bb.7:                                ;   in Loop: Header=BB0_2 Depth=1
	v_mov_b32_e32 v5, v76
	v_mov_b32_e32 v6, v77
	s_branch .LBB0_2
.LBB0_8:
	v_mov_b32_e32 v73, v2
	v_mov_b32_e32 v77, v6
	;; [unrolled: 1-line block ×4, first 2 shown]
.LBB0_9:
	s_load_dwordx2 s[2:3], s[4:5], 0x28
	s_lshl_b64 s[6:7], s[14:15], 3
	s_add_u32 s4, s18, s6
	v_and_b32_e32 v3, 1, v7
	s_addc_u32 s5, s19, s7
	s_waitcnt lgkmcnt(0)
	v_cmp_gt_u64_e64 s[0:1], s[2:3], v[76:77]
	v_cmp_le_u64_e64 s[2:3], s[2:3], v[76:77]
	v_cmp_eq_u32_e32 vcc, 1, v3
	v_mov_b32_e32 v3, 0x1b1
                                        ; implicit-def: $vgpr74
	s_and_saveexec_b64 s[14:15], s[2:3]
	s_xor_b64 s[2:3], exec, s[14:15]
; %bb.10:
	s_mov_b32 s14, 0x97b425f
	v_mul_hi_u32 v1, v0, s14
	v_mul_u32_u24_e32 v1, 27, v1
	v_sub_u32_e32 v74, v0, v1
                                        ; implicit-def: $vgpr0
                                        ; implicit-def: $vgpr1_vgpr2
; %bb.11:
	s_or_saveexec_b64 s[2:3], s[2:3]
	s_load_dwordx2 s[4:5], s[4:5], 0x0
	v_cndmask_b32_e32 v87, 0, v3, vcc
	v_lshlrev_b32_e32 v88, 4, v87
	s_xor_b64 exec, exec, s[2:3]
	s_cbranch_execz .LBB0_15
; %bb.12:
	s_add_u32 s6, s16, s6
	s_addc_u32 s7, s17, s7
	s_load_dwordx2 s[6:7], s[6:7], 0x0
	s_mov_b32 s14, 0x97b425f
	v_mul_hi_u32 v5, v0, s14
	v_lshlrev_b64 v[1:2], 4, v[1:2]
	s_waitcnt lgkmcnt(0)
	v_mul_lo_u32 v6, s7, v76
	v_mul_lo_u32 v7, s6, v77
	v_mad_u64_u32 v[3:4], s[6:7], s6, v76, 0
	v_mul_u32_u24_e32 v5, 27, v5
	v_sub_u32_e32 v74, v0, v5
	v_add3_u32 v4, v4, v7, v6
	v_lshlrev_b64 v[3:4], 4, v[3:4]
	v_mov_b32_e32 v0, s9
	v_add_co_u32_e32 v3, vcc, s8, v3
	v_addc_co_u32_e32 v0, vcc, v0, v4, vcc
	v_add_co_u32_e32 v1, vcc, v3, v1
	v_addc_co_u32_e32 v0, vcc, v0, v2, vcc
	v_lshlrev_b32_e32 v2, 4, v74
	v_add_co_u32_e32 v43, vcc, v1, v2
	v_addc_co_u32_e32 v44, vcc, 0, v0, vcc
	s_movk_i32 s6, 0x1000
	v_add_co_u32_e32 v67, vcc, s6, v43
	v_addc_co_u32_e32 v68, vcc, 0, v44, vcc
	global_load_dwordx4 v[3:6], v[43:44], off
	global_load_dwordx4 v[7:10], v[43:44], off offset:432
	global_load_dwordx4 v[11:14], v[43:44], off offset:864
	;; [unrolled: 1-line block ×9, first 2 shown]
	s_nop 0
	global_load_dwordx4 v[43:46], v[67:68], off offset:224
	global_load_dwordx4 v[47:50], v[67:68], off offset:656
	;; [unrolled: 1-line block ×6, first 2 shown]
	v_add3_u32 v2, 0, v88, v2
	v_cmp_eq_u32_e32 vcc, 26, v74
	s_waitcnt vmcnt(15)
	ds_write_b128 v2, v[3:6]
	s_waitcnt vmcnt(14)
	ds_write_b128 v2, v[7:10] offset:432
	s_waitcnt vmcnt(13)
	ds_write_b128 v2, v[11:14] offset:864
	;; [unrolled: 2-line block ×15, first 2 shown]
	s_and_saveexec_b64 s[6:7], vcc
	s_cbranch_execz .LBB0_14
; %bb.13:
	v_add_co_u32_e32 v3, vcc, 0x1000, v1
	v_addc_co_u32_e32 v4, vcc, 0, v0, vcc
	global_load_dwordx4 v[3:6], v[3:4], off offset:2816
	v_mov_b32_e32 v74, 26
	s_waitcnt vmcnt(0)
	ds_write_b128 v2, v[3:6] offset:6496
.LBB0_14:
	s_or_b64 exec, exec, s[6:7]
.LBB0_15:
	s_or_b64 exec, exec, s[2:3]
	v_lshl_add_u32 v86, v87, 4, 0
	v_lshlrev_b32_e32 v0, 4, v74
	v_add_u32_e32 v89, v86, v0
	s_waitcnt lgkmcnt(0)
	; wave barrier
	s_waitcnt lgkmcnt(0)
	v_sub_u32_e32 v10, v86, v0
	ds_read_b64 v[6:7], v89
	ds_read_b64 v[8:9], v10 offset:6912
	s_add_u32 s6, s12, 0x1ad0
	s_addc_u32 s7, s13, 0
	v_cmp_ne_u32_e32 vcc, 0, v74
                                        ; implicit-def: $vgpr4_vgpr5
	s_waitcnt lgkmcnt(0)
	v_add_f64 v[0:1], v[6:7], v[8:9]
	v_add_f64 v[2:3], v[6:7], -v[8:9]
	s_and_saveexec_b64 s[2:3], vcc
	s_xor_b64 s[2:3], exec, s[2:3]
	s_cbranch_execz .LBB0_17
; %bb.16:
	v_mov_b32_e32 v75, 0
	v_lshlrev_b64 v[0:1], 4, v[74:75]
	v_mov_b32_e32 v2, s7
	v_add_co_u32_e32 v0, vcc, s6, v0
	v_addc_co_u32_e32 v1, vcc, v2, v1, vcc
	global_load_dwordx4 v[2:5], v[0:1], off
	ds_read_b64 v[0:1], v10 offset:6920
	ds_read_b64 v[11:12], v89 offset:8
	v_add_f64 v[13:14], v[6:7], v[8:9]
	v_add_f64 v[8:9], v[6:7], -v[8:9]
	s_waitcnt lgkmcnt(0)
	v_add_f64 v[15:16], v[0:1], v[11:12]
	v_add_f64 v[0:1], v[11:12], -v[0:1]
	s_waitcnt vmcnt(0)
	v_fma_f64 v[6:7], -v[8:9], v[4:5], v[13:14]
	v_fma_f64 v[11:12], v[15:16], v[4:5], -v[0:1]
	v_fma_f64 v[13:14], v[8:9], v[4:5], v[13:14]
	v_fma_f64 v[17:18], v[15:16], v[4:5], v[0:1]
	v_fma_f64 v[4:5], v[15:16], v[2:3], v[6:7]
	v_fma_f64 v[6:7], v[8:9], v[2:3], v[11:12]
	v_fma_f64 v[0:1], -v[15:16], v[2:3], v[13:14]
	v_fma_f64 v[2:3], v[8:9], v[2:3], v[17:18]
	ds_write_b128 v10, v[4:7] offset:6912
	v_mov_b32_e32 v4, v74
	v_mov_b32_e32 v5, v75
.LBB0_17:
	s_andn2_saveexec_b64 s[2:3], s[2:3]
	s_cbranch_execz .LBB0_19
; %bb.18:
	ds_read_b128 v[4:7], v86 offset:3456
	s_waitcnt lgkmcnt(0)
	v_add_f64 v[11:12], v[4:5], v[4:5]
	v_mul_f64 v[13:14], v[6:7], -2.0
	v_mov_b32_e32 v4, 0
	v_mov_b32_e32 v5, 0
	ds_write_b128 v86, v[11:14] offset:3456
.LBB0_19:
	s_or_b64 exec, exec, s[2:3]
	v_lshlrev_b64 v[4:5], 4, v[4:5]
	v_mov_b32_e32 v6, s7
	v_add_co_u32_e32 v23, vcc, s6, v4
	v_addc_co_u32_e32 v24, vcc, v6, v5, vcc
	global_load_dwordx4 v[4:7], v[23:24], off offset:432
	global_load_dwordx4 v[11:14], v[23:24], off offset:864
	ds_write_b128 v89, v[0:3]
	ds_read_b128 v[0:3], v89 offset:432
	ds_read_b128 v[15:18], v10 offset:6480
	global_load_dwordx4 v[19:22], v[23:24], off offset:1296
	v_lshl_add_u32 v90, v74, 4, 0
	v_add_u32_e32 v75, v90, v88
	s_mov_b32 s2, 0xe8584caa
	s_waitcnt lgkmcnt(0)
	v_add_f64 v[8:9], v[0:1], v[15:16]
	v_add_f64 v[25:26], v[17:18], v[2:3]
	v_add_f64 v[15:16], v[0:1], -v[15:16]
	v_add_f64 v[0:1], v[2:3], -v[17:18]
	s_mov_b32 s3, 0xbfebb67a
	s_mov_b32 s7, 0x3febb67a
	;; [unrolled: 1-line block ×3, first 2 shown]
	v_cmp_gt_u32_e32 vcc, 9, v74
	s_waitcnt vmcnt(2)
	v_fma_f64 v[2:3], v[15:16], v[6:7], v[8:9]
	v_fma_f64 v[17:18], v[25:26], v[6:7], v[0:1]
	v_fma_f64 v[8:9], -v[15:16], v[6:7], v[8:9]
	v_fma_f64 v[27:28], v[25:26], v[6:7], -v[0:1]
	v_fma_f64 v[0:1], -v[25:26], v[4:5], v[2:3]
	v_fma_f64 v[2:3], v[15:16], v[4:5], v[17:18]
	v_fma_f64 v[6:7], v[25:26], v[4:5], v[8:9]
	v_fma_f64 v[8:9], v[15:16], v[4:5], v[27:28]
	ds_write_b128 v89, v[0:3] offset:432
	ds_write_b128 v10, v[6:9] offset:6480
	ds_read_b128 v[0:3], v89 offset:864
	ds_read_b128 v[4:7], v10 offset:6048
	global_load_dwordx4 v[15:18], v[23:24], off offset:1728
	s_waitcnt lgkmcnt(0)
	v_add_f64 v[8:9], v[0:1], v[4:5]
	v_add_f64 v[25:26], v[6:7], v[2:3]
	v_add_f64 v[27:28], v[0:1], -v[4:5]
	v_add_f64 v[0:1], v[2:3], -v[6:7]
	s_waitcnt vmcnt(2)
	v_fma_f64 v[2:3], v[27:28], v[13:14], v[8:9]
	v_fma_f64 v[4:5], v[25:26], v[13:14], v[0:1]
	v_fma_f64 v[6:7], -v[27:28], v[13:14], v[8:9]
	v_fma_f64 v[8:9], v[25:26], v[13:14], -v[0:1]
	v_fma_f64 v[0:1], -v[25:26], v[11:12], v[2:3]
	v_fma_f64 v[2:3], v[27:28], v[11:12], v[4:5]
	v_fma_f64 v[4:5], v[25:26], v[11:12], v[6:7]
	v_fma_f64 v[6:7], v[27:28], v[11:12], v[8:9]
	ds_write_b128 v89, v[0:3] offset:864
	ds_write_b128 v10, v[4:7] offset:6048
	ds_read_b128 v[0:3], v89 offset:1296
	ds_read_b128 v[4:7], v10 offset:5616
	global_load_dwordx4 v[11:14], v[23:24], off offset:2160
	s_waitcnt lgkmcnt(0)
	v_add_f64 v[8:9], v[0:1], v[4:5]
	v_add_f64 v[25:26], v[6:7], v[2:3]
	v_add_f64 v[27:28], v[0:1], -v[4:5]
	v_add_f64 v[0:1], v[2:3], -v[6:7]
	;; [unrolled: 19-line block ×4, first 2 shown]
	s_waitcnt vmcnt(2)
	v_fma_f64 v[2:3], v[25:26], v[13:14], v[8:9]
	v_fma_f64 v[4:5], v[23:24], v[13:14], v[0:1]
	v_fma_f64 v[6:7], -v[25:26], v[13:14], v[8:9]
	v_fma_f64 v[8:9], v[23:24], v[13:14], -v[0:1]
	v_fma_f64 v[0:1], -v[23:24], v[11:12], v[2:3]
	v_fma_f64 v[2:3], v[25:26], v[11:12], v[4:5]
	v_fma_f64 v[4:5], v[23:24], v[11:12], v[6:7]
	;; [unrolled: 1-line block ×3, first 2 shown]
	ds_write_b128 v89, v[0:3] offset:2160
	ds_write_b128 v10, v[4:7] offset:4752
	ds_read_b128 v[0:3], v89 offset:2592
	ds_read_b128 v[4:7], v10 offset:4320
	s_waitcnt lgkmcnt(0)
	v_add_f64 v[8:9], v[0:1], v[4:5]
	v_add_f64 v[11:12], v[6:7], v[2:3]
	v_add_f64 v[13:14], v[0:1], -v[4:5]
	v_add_f64 v[0:1], v[2:3], -v[6:7]
	s_waitcnt vmcnt(1)
	v_fma_f64 v[2:3], v[13:14], v[21:22], v[8:9]
	v_fma_f64 v[4:5], v[11:12], v[21:22], v[0:1]
	v_fma_f64 v[6:7], -v[13:14], v[21:22], v[8:9]
	v_fma_f64 v[8:9], v[11:12], v[21:22], -v[0:1]
	v_fma_f64 v[0:1], -v[11:12], v[19:20], v[2:3]
	v_fma_f64 v[2:3], v[13:14], v[19:20], v[4:5]
	v_fma_f64 v[4:5], v[11:12], v[19:20], v[6:7]
	;; [unrolled: 1-line block ×3, first 2 shown]
	ds_write_b128 v89, v[0:3] offset:2592
	ds_write_b128 v10, v[4:7] offset:4320
	ds_read_b128 v[0:3], v89 offset:3024
	ds_read_b128 v[4:7], v10 offset:3888
	s_waitcnt lgkmcnt(0)
	v_add_f64 v[8:9], v[0:1], v[4:5]
	v_add_f64 v[11:12], v[6:7], v[2:3]
	v_add_f64 v[13:14], v[0:1], -v[4:5]
	v_add_f64 v[0:1], v[2:3], -v[6:7]
	s_waitcnt vmcnt(0)
	v_fma_f64 v[2:3], v[13:14], v[17:18], v[8:9]
	v_fma_f64 v[4:5], v[11:12], v[17:18], v[0:1]
	v_fma_f64 v[6:7], -v[13:14], v[17:18], v[8:9]
	v_fma_f64 v[8:9], v[11:12], v[17:18], -v[0:1]
	v_fma_f64 v[0:1], -v[11:12], v[15:16], v[2:3]
	v_fma_f64 v[2:3], v[13:14], v[15:16], v[4:5]
	v_fma_f64 v[4:5], v[11:12], v[15:16], v[6:7]
	;; [unrolled: 1-line block ×3, first 2 shown]
	ds_write_b128 v89, v[0:3] offset:3024
	ds_write_b128 v10, v[4:7] offset:3888
	s_waitcnt lgkmcnt(0)
	; wave barrier
	s_waitcnt lgkmcnt(0)
	s_waitcnt lgkmcnt(0)
	; wave barrier
	s_waitcnt lgkmcnt(0)
	ds_read_b128 v[0:3], v75 offset:2304
	ds_read_b128 v[16:19], v89
	ds_read_b128 v[20:23], v75 offset:432
	ds_read_b128 v[4:7], v75 offset:2736
	;; [unrolled: 1-line block ×10, first 2 shown]
	s_waitcnt lgkmcnt(10)
	v_add_f64 v[36:37], v[16:17], v[0:1]
	v_add_f64 v[50:51], v[18:19], v[2:3]
	s_waitcnt lgkmcnt(7)
	v_add_f64 v[52:53], v[0:1], v[8:9]
	v_add_f64 v[58:59], v[0:1], -v[8:9]
	v_add_f64 v[0:1], v[20:21], v[4:5]
	v_add_f64 v[54:55], v[2:3], -v[10:11]
	v_add_f64 v[56:57], v[2:3], v[10:11]
	v_add_f64 v[2:3], v[22:23], v[6:7]
	s_waitcnt lgkmcnt(6)
	v_add_f64 v[60:61], v[4:5], v[12:13]
	v_add_f64 v[66:67], v[4:5], -v[12:13]
	v_add_f64 v[4:5], v[36:37], v[8:9]
	s_waitcnt lgkmcnt(4)
	v_add_f64 v[36:37], v[32:33], v[24:25]
	v_add_f64 v[62:63], v[6:7], -v[14:15]
	v_add_f64 v[64:65], v[6:7], v[14:15]
	v_add_f64 v[6:7], v[50:51], v[10:11]
	;; [unrolled: 1-line block ×4, first 2 shown]
	s_waitcnt lgkmcnt(1)
	v_add_f64 v[68:69], v[24:25], v[28:29]
	v_add_f64 v[70:71], v[26:27], -v[30:31]
	v_add_f64 v[26:27], v[26:27], v[30:31]
	v_add_f64 v[0:1], v[38:39], v[42:43]
	;; [unrolled: 1-line block ×3, first 2 shown]
	v_add_f64 v[78:79], v[24:25], -v[28:29]
	v_add_f64 v[12:13], v[36:37], v[28:29]
	v_add_f64 v[2:3], v[40:41], v[44:45]
	s_waitcnt lgkmcnt(0)
	v_add_f64 v[36:37], v[42:43], v[46:47]
	v_add_f64 v[28:29], v[44:45], -v[48:49]
	v_add_f64 v[44:45], v[44:45], v[48:49]
	v_add_f64 v[14:15], v[50:51], v[30:31]
	v_add_f64 v[30:31], v[42:43], -v[46:47]
	v_add_f64 v[0:1], v[0:1], v[46:47]
	v_fma_f64 v[46:47], v[52:53], -0.5, v[16:17]
	v_fma_f64 v[50:51], v[56:57], -0.5, v[18:19]
	ds_read_b128 v[16:19], v75 offset:1728
	v_fma_f64 v[56:57], v[60:61], -0.5, v[20:21]
	v_fma_f64 v[60:61], v[64:65], -0.5, v[22:23]
	ds_read_b128 v[20:23], v75 offset:4032
	;; [unrolled: 3-line block ×3, first 2 shown]
	v_fma_f64 v[38:39], v[36:37], -0.5, v[38:39]
	s_waitcnt lgkmcnt(1)
	v_add_f64 v[32:33], v[16:17], v[20:21]
	v_fma_f64 v[36:37], v[44:45], -0.5, v[40:41]
	v_add_f64 v[34:35], v[18:19], v[22:23]
	s_waitcnt lgkmcnt(0)
	v_add_f64 v[44:45], v[20:21], v[24:25]
	v_add_f64 v[40:41], v[22:23], -v[26:27]
	v_add_f64 v[22:23], v[22:23], v[26:27]
	v_add_f64 v[42:43], v[20:21], -v[24:25]
	v_add_f64 v[2:3], v[2:3], v[48:49]
	v_add_f64 v[32:33], v[32:33], v[24:25]
	v_fma_f64 v[48:49], v[54:55], s[6:7], v[46:47]
	v_add_f64 v[34:35], v[34:35], v[26:27]
	v_fma_f64 v[80:81], v[44:45], -0.5, v[16:17]
	v_fma_f64 v[44:45], v[54:55], s[2:3], v[46:47]
	v_fma_f64 v[82:83], v[22:23], -0.5, v[18:19]
	ds_read_b128 v[16:19], v75 offset:2160
	ds_read_b128 v[24:27], v75 offset:4464
	;; [unrolled: 1-line block ×3, first 2 shown]
	v_fma_f64 v[46:47], v[58:59], s[6:7], v[50:51]
	v_fma_f64 v[50:51], v[58:59], s[2:3], v[50:51]
	;; [unrolled: 1-line block ×8, first 2 shown]
	v_mad_u32_u24 v68, v74, 48, 0
	v_add_u32_e32 v69, v68, v88
	s_waitcnt lgkmcnt(0)
	; wave barrier
	s_waitcnt lgkmcnt(0)
	ds_write_b128 v69, v[4:7]
	ds_write_b128 v69, v[8:11] offset:1296
	v_add_f64 v[4:5], v[24:25], v[20:21]
	v_add_f64 v[6:7], v[26:27], v[22:23]
	ds_write_b128 v69, v[12:15] offset:2592
	ds_write_b128 v69, v[0:3] offset:3888
	v_add_f64 v[2:3], v[26:27], -v[22:23]
	v_add_f64 v[9:10], v[24:25], -v[20:21]
	v_fma_f64 v[60:61], v[70:71], s[2:3], v[64:65]
	v_fma_f64 v[64:65], v[70:71], s[6:7], v[64:65]
	v_fma_f64 v[4:5], v[4:5], -0.5, v[16:17]
	v_fma_f64 v[11:12], v[6:7], -0.5, v[18:19]
	v_fma_f64 v[13:14], v[28:29], s[2:3], v[38:39]
	v_fma_f64 v[28:29], v[28:29], s[6:7], v[38:39]
	;; [unrolled: 1-line block ×4, first 2 shown]
	v_add_u32_e32 v8, 0x1440, v68
	v_fma_f64 v[36:37], v[40:41], s[2:3], v[80:81]
	v_fma_f64 v[0:1], v[2:3], s[2:3], v[4:5]
	;; [unrolled: 1-line block ×5, first 2 shown]
	v_add_u32_e32 v15, 0x800, v69
	v_add_u32_e32 v68, v8, v88
	ds_write_b128 v69, v[44:47] offset:16
	v_fma_f64 v[40:41], v[40:41], s[6:7], v[80:81]
	v_fma_f64 v[44:45], v[42:43], s[6:7], v[82:83]
	;; [unrolled: 1-line block ×3, first 2 shown]
	ds_write_b128 v69, v[48:51] offset:32
	ds_write_b128 v69, v[52:55] offset:1312
	;; [unrolled: 1-line block ×5, first 2 shown]
	ds_write2_b64 v15, v[13:14], v[38:39] offset0:232 offset1:233
	ds_write2_b64 v15, v[28:29], v[30:31] offset0:234 offset1:235
	;; [unrolled: 1-line block ×3, first 2 shown]
	ds_write2_b64 v68, v[32:33], v[44:45] offset1:3
	ds_write2_b64 v68, v[40:41], v[42:43] offset0:4 offset1:5
	s_and_saveexec_b64 s[2:3], vcc
	s_cbranch_execz .LBB0_21
; %bb.20:
	v_add_f64 v[9:10], v[18:19], v[26:27]
	v_add_f64 v[11:12], v[16:17], v[24:25]
	v_lshl_add_u32 v8, v87, 4, v8
	v_add_f64 v[9:10], v[9:10], v[22:23]
	v_add_f64 v[11:12], v[11:12], v[20:21]
	ds_write2_b64 v8, v[9:10], v[0:1] offset0:163 offset1:164
	ds_write2_b64 v8, v[11:12], v[2:3] offset0:162 offset1:165
	;; [unrolled: 1-line block ×3, first 2 shown]
.LBB0_21:
	s_or_b64 exec, exec, s[2:3]
	s_movk_i32 s18, 0xab
	v_mul_lo_u16_sdwa v24, v74, s18 dst_sel:DWORD dst_unused:UNUSED_PAD src0_sel:BYTE_0 src1_sel:DWORD
	v_lshrrev_b16_e32 v26, 9, v24
	v_mul_lo_u16_e32 v24, 3, v26
	v_sub_u16_e32 v27, v74, v24
	v_mov_b32_e32 v24, 15
	v_mul_u32_u24_sdwa v24, v27, v24 dst_sel:DWORD dst_unused:UNUSED_PAD src0_sel:BYTE_0 src1_sel:DWORD
	v_lshlrev_b32_e32 v105, 4, v24
	s_waitcnt lgkmcnt(0)
	; wave barrier
	s_waitcnt lgkmcnt(0)
	ds_read_b128 v[8:11], v89
	ds_read_b128 v[28:31], v75 offset:432
	ds_read_b128 v[32:35], v75 offset:864
	;; [unrolled: 1-line block ×15, first 2 shown]
	global_load_dwordx4 v[82:85], v105, s[12:13] offset:48
	global_load_dwordx4 v[91:94], v105, s[12:13] offset:32
	;; [unrolled: 1-line block ×3, first 2 shown]
	global_load_dwordx4 v[99:102], v105, s[12:13]
	s_mov_b32 s2, 0x667f3bcd
	s_mov_b32 s3, 0xbfe6a09e
	;; [unrolled: 1-line block ×12, first 2 shown]
	s_waitcnt vmcnt(0) lgkmcnt(14)
	v_mul_f64 v[24:25], v[30:31], v[101:102]
	v_fma_f64 v[103:104], v[28:29], v[99:100], v[24:25]
	v_mul_f64 v[24:25], v[28:29], v[101:102]
	s_waitcnt lgkmcnt(12)
	v_mul_f64 v[28:29], v[36:37], v[93:94]
	v_fma_f64 v[99:100], v[30:31], v[99:100], -v[24:25]
	v_mul_f64 v[24:25], v[34:35], v[97:98]
	v_fma_f64 v[101:102], v[32:33], v[95:96], v[24:25]
	v_mul_f64 v[24:25], v[32:33], v[97:98]
	v_fma_f64 v[95:96], v[34:35], v[95:96], -v[24:25]
	v_mul_f64 v[24:25], v[38:39], v[93:94]
	v_fma_f64 v[24:25], v[36:37], v[91:92], v[24:25]
	v_fma_f64 v[91:92], v[38:39], v[91:92], -v[28:29]
	s_waitcnt lgkmcnt(11)
	v_mul_f64 v[28:29], v[42:43], v[84:85]
	v_fma_f64 v[93:94], v[40:41], v[82:83], v[28:29]
	v_mul_f64 v[28:29], v[40:41], v[84:85]
	v_fma_f64 v[82:83], v[42:43], v[82:83], -v[28:29]
	global_load_dwordx4 v[28:31], v105, s[12:13] offset:112
	global_load_dwordx4 v[32:35], v105, s[12:13] offset:96
	;; [unrolled: 1-line block ×4, first 2 shown]
	s_waitcnt vmcnt(0) lgkmcnt(10)
	v_mul_f64 v[84:85], v[46:47], v[42:43]
	v_mul_f64 v[42:43], v[44:45], v[42:43]
	v_fma_f64 v[84:85], v[44:45], v[40:41], v[84:85]
	v_fma_f64 v[44:45], v[46:47], v[40:41], -v[42:43]
	s_waitcnt lgkmcnt(9)
	v_mul_f64 v[40:41], v[50:51], v[38:39]
	v_mul_f64 v[38:39], v[48:49], v[38:39]
	v_fma_f64 v[46:47], v[48:49], v[36:37], v[40:41]
	v_fma_f64 v[48:49], v[50:51], v[36:37], -v[38:39]
	s_waitcnt lgkmcnt(8)
	v_mul_f64 v[36:37], v[54:55], v[34:35]
	v_mul_f64 v[34:35], v[52:53], v[34:35]
	v_fma_f64 v[50:51], v[52:53], v[32:33], v[36:37]
	v_fma_f64 v[52:53], v[54:55], v[32:33], -v[34:35]
	s_waitcnt lgkmcnt(7)
	v_mul_f64 v[32:33], v[58:59], v[30:31]
	v_mul_f64 v[30:31], v[56:57], v[30:31]
	v_fma_f64 v[54:55], v[56:57], v[28:29], v[32:33]
	v_fma_f64 v[56:57], v[58:59], v[28:29], -v[30:31]
	global_load_dwordx4 v[28:31], v105, s[12:13] offset:176
	global_load_dwordx4 v[32:35], v105, s[12:13] offset:160
	;; [unrolled: 1-line block ×4, first 2 shown]
	s_waitcnt vmcnt(0) lgkmcnt(6)
	v_mul_f64 v[58:59], v[62:63], v[42:43]
	v_mul_f64 v[42:43], v[60:61], v[42:43]
	v_fma_f64 v[58:59], v[60:61], v[40:41], v[58:59]
	v_fma_f64 v[40:41], v[62:63], v[40:41], -v[42:43]
	s_waitcnt lgkmcnt(5)
	v_mul_f64 v[42:43], v[66:67], v[38:39]
	v_mul_f64 v[38:39], v[64:65], v[38:39]
	v_add_f64 v[58:59], v[103:104], -v[58:59]
	v_add_f64 v[40:41], v[99:100], -v[40:41]
	v_fma_f64 v[42:43], v[64:65], v[36:37], v[42:43]
	v_fma_f64 v[60:61], v[66:67], v[36:37], -v[38:39]
	s_waitcnt lgkmcnt(4)
	v_mul_f64 v[36:37], v[70:71], v[34:35]
	v_mul_f64 v[34:35], v[68:69], v[34:35]
	v_fma_f64 v[62:63], v[68:69], v[32:33], v[36:37]
	v_fma_f64 v[64:65], v[70:71], v[32:33], -v[34:35]
	s_waitcnt lgkmcnt(3)
	v_mul_f64 v[32:33], v[80:81], v[30:31]
	v_mul_f64 v[30:31], v[78:79], v[30:31]
	v_add_f64 v[62:63], v[24:25], -v[62:63]
	v_add_f64 v[64:65], v[91:92], -v[64:65]
	v_fma_f64 v[66:67], v[78:79], v[28:29], v[32:33]
	v_fma_f64 v[68:69], v[80:81], v[28:29], -v[30:31]
	global_load_dwordx4 v[28:31], v105, s[12:13] offset:224
	global_load_dwordx4 v[32:35], v105, s[12:13] offset:208
	global_load_dwordx4 v[36:39], v105, s[12:13] offset:192
	s_waitcnt lgkmcnt(0)
	; wave barrier
	s_waitcnt lgkmcnt(0)
	v_fma_f64 v[24:25], v[24:25], 2.0, -v[62:63]
	v_fma_f64 v[78:79], v[91:92], 2.0, -v[64:65]
	s_waitcnt vmcnt(0)
	v_mul_f64 v[70:71], v[22:23], v[38:39]
	v_fma_f64 v[70:71], v[20:21], v[36:37], v[70:71]
	v_mul_f64 v[20:21], v[20:21], v[38:39]
	v_add_f64 v[38:39], v[101:102], -v[42:43]
	v_add_f64 v[42:43], v[95:96], -v[60:61]
	v_fma_f64 v[60:61], v[103:104], 2.0, -v[58:59]
	v_fma_f64 v[20:21], v[22:23], v[36:37], -v[20:21]
	v_mul_f64 v[22:23], v[18:19], v[34:35]
	v_add_f64 v[20:21], v[44:45], -v[20:21]
	v_fma_f64 v[22:23], v[16:17], v[32:33], v[22:23]
	v_mul_f64 v[16:17], v[16:17], v[34:35]
	v_fma_f64 v[44:45], v[44:45], 2.0, -v[20:21]
	v_add_f64 v[22:23], v[46:47], -v[22:23]
	v_fma_f64 v[16:17], v[18:19], v[32:33], -v[16:17]
	v_mul_f64 v[18:19], v[14:15], v[30:31]
	v_add_f64 v[32:33], v[82:83], -v[68:69]
	v_add_f64 v[68:69], v[84:85], -v[70:71]
	v_add_f64 v[20:21], v[58:59], v[20:21]
	v_fma_f64 v[46:47], v[46:47], 2.0, -v[22:23]
	v_add_f64 v[16:17], v[48:49], -v[16:17]
	v_fma_f64 v[18:19], v[12:13], v[28:29], v[18:19]
	v_mul_f64 v[12:13], v[12:13], v[30:31]
	v_add_f64 v[30:31], v[93:94], -v[66:67]
	v_fma_f64 v[36:37], v[82:83], 2.0, -v[32:33]
	v_add_f64 v[22:23], v[42:43], -v[22:23]
	v_fma_f64 v[66:67], v[99:100], 2.0, -v[40:41]
	v_fma_f64 v[70:71], v[84:85], 2.0, -v[68:69]
	;; [unrolled: 1-line block ×3, first 2 shown]
	v_add_f64 v[16:17], v[38:39], v[16:17]
	v_fma_f64 v[12:13], v[14:15], v[28:29], -v[12:13]
	v_add_f64 v[14:15], v[8:9], -v[54:55]
	v_add_f64 v[28:29], v[10:11], -v[56:57]
	v_fma_f64 v[34:35], v[93:94], 2.0, -v[30:31]
	v_fma_f64 v[54:55], v[101:102], 2.0, -v[38:39]
	;; [unrolled: 1-line block ×3, first 2 shown]
	v_add_f64 v[18:19], v[50:51], -v[18:19]
	v_fma_f64 v[38:39], v[38:39], 2.0, -v[16:17]
	v_add_f64 v[12:13], v[52:53], -v[12:13]
	v_add_f64 v[32:33], v[14:15], v[32:33]
	v_add_f64 v[30:31], v[28:29], -v[30:31]
	v_fma_f64 v[8:9], v[8:9], 2.0, -v[14:15]
	v_fma_f64 v[10:11], v[10:11], 2.0, -v[28:29]
	;; [unrolled: 1-line block ×4, first 2 shown]
	v_add_f64 v[46:47], v[54:55], -v[46:47]
	v_fma_f64 v[52:53], v[52:53], 2.0, -v[12:13]
	v_fma_f64 v[14:15], v[14:15], 2.0, -v[32:33]
	;; [unrolled: 1-line block ×3, first 2 shown]
	v_add_f64 v[34:35], v[8:9], -v[34:35]
	v_add_f64 v[36:37], v[10:11], -v[36:37]
	;; [unrolled: 1-line block ×6, first 2 shown]
	v_fma_f64 v[80:81], v[38:39], s[2:3], v[14:15]
	v_fma_f64 v[82:83], v[42:43], s[2:3], v[28:29]
	v_add_f64 v[50:51], v[24:25], -v[50:51]
	v_add_f64 v[52:53], v[78:79], -v[52:53]
	v_add_f64 v[12:13], v[62:63], v[12:13]
	v_add_f64 v[18:19], v[64:65], -v[18:19]
	v_fma_f64 v[8:9], v[8:9], 2.0, -v[34:35]
	v_fma_f64 v[10:11], v[10:11], 2.0, -v[36:37]
	v_fma_f64 v[80:81], v[42:43], s[6:7], v[80:81]
	v_fma_f64 v[82:83], v[38:39], s[2:3], v[82:83]
	v_fma_f64 v[54:55], v[54:55], 2.0, -v[46:47]
	v_fma_f64 v[56:57], v[56:57], 2.0, -v[48:49]
	;; [unrolled: 1-line block ×12, first 2 shown]
	v_fma_f64 v[14:15], v[16:17], s[6:7], v[32:33]
	v_fma_f64 v[28:29], v[22:23], s[6:7], v[30:31]
	v_add_f64 v[54:55], v[8:9], -v[54:55]
	v_add_f64 v[56:57], v[10:11], -v[56:57]
	;; [unrolled: 1-line block ×5, first 2 shown]
	v_add_f64 v[84:85], v[34:35], v[48:49]
	v_fma_f64 v[93:94], v[22:23], s[6:7], v[14:15]
	v_fma_f64 v[95:96], v[16:17], s[2:3], v[28:29]
	;; [unrolled: 1-line block ×4, first 2 shown]
	v_fma_f64 v[8:9], v[8:9], 2.0, -v[54:55]
	v_fma_f64 v[10:11], v[10:11], 2.0, -v[56:57]
	;; [unrolled: 1-line block ×5, first 2 shown]
	v_fma_f64 v[36:37], v[18:19], s[6:7], v[68:69]
	v_fma_f64 v[60:61], v[64:65], s[6:7], v[22:23]
	;; [unrolled: 1-line block ×3, first 2 shown]
	v_fma_f64 v[99:100], v[30:31], 2.0, -v[95:96]
	v_add_f64 v[66:67], v[70:71], v[52:53]
	v_add_f64 v[64:65], v[44:45], -v[50:51]
	v_fma_f64 v[30:31], v[12:13], s[6:7], v[20:21]
	v_fma_f64 v[46:47], v[34:35], 2.0, -v[84:85]
	v_fma_f64 v[103:104], v[12:13], s[2:3], v[36:37]
	v_fma_f64 v[22:23], v[58:59], 2.0, -v[60:61]
	v_fma_f64 v[28:29], v[40:41], 2.0, -v[62:63]
	v_add_f64 v[12:13], v[8:9], -v[14:15]
	v_add_f64 v[14:15], v[10:11], -v[16:17]
	v_fma_f64 v[97:98], v[32:33], 2.0, -v[93:94]
	v_fma_f64 v[34:35], v[70:71], 2.0, -v[66:67]
	;; [unrolled: 1-line block ×3, first 2 shown]
	v_fma_f64 v[101:102], v[18:19], s[6:7], v[30:31]
	v_fma_f64 v[40:41], v[68:69], 2.0, -v[103:104]
	v_add_f64 v[50:51], v[56:57], -v[24:25]
	v_fma_f64 v[16:17], v[8:9], 2.0, -v[12:13]
	v_fma_f64 v[18:19], v[10:11], 2.0, -v[14:15]
	v_fma_f64 v[8:9], v[22:23], s[16:17], v[38:39]
	v_fma_f64 v[10:11], v[28:29], s[16:17], v[42:43]
	v_mul_u32_u24_e32 v24, 48, v26
	v_fma_f64 v[44:45], v[20:21], 2.0, -v[101:102]
	v_or_b32_sdwa v24, v24, v27 dst_sel:DWORD dst_unused:UNUSED_PAD src0_sel:DWORD src1_sel:BYTE_0
	v_lshlrev_b32_e32 v24, 4, v24
	v_add3_u32 v24, 0, v24, v88
	v_fma_f64 v[20:21], v[28:29], s[14:15], v[8:9]
	v_fma_f64 v[22:23], v[22:23], s[8:9], v[10:11]
	;; [unrolled: 1-line block ×4, first 2 shown]
	v_fma_f64 v[28:29], v[38:39], 2.0, -v[20:21]
	v_fma_f64 v[30:31], v[42:43], 2.0, -v[22:23]
	v_fma_f64 v[32:33], v[32:33], s[6:7], v[8:9]
	v_fma_f64 v[34:35], v[34:35], s[2:3], v[10:11]
	v_fma_f64 v[8:9], v[44:45], s[8:9], v[97:98]
	v_fma_f64 v[10:11], v[40:41], s[8:9], v[99:100]
	v_fma_f64 v[36:37], v[46:47], 2.0, -v[32:33]
	v_fma_f64 v[38:39], v[48:49], 2.0, -v[34:35]
	v_fma_f64 v[40:41], v[40:41], s[20:21], v[8:9]
	v_fma_f64 v[42:43], v[44:45], s[16:17], v[10:11]
	v_add_f64 v[48:49], v[54:55], v[78:79]
	v_fma_f64 v[8:9], v[60:61], s[14:15], v[80:81]
	v_fma_f64 v[10:11], v[62:63], s[14:15], v[82:83]
	v_fma_f64 v[44:45], v[97:98], 2.0, -v[40:41]
	v_fma_f64 v[46:47], v[99:100], 2.0, -v[42:43]
	;; [unrolled: 1-line block ×4, first 2 shown]
	v_fma_f64 v[56:57], v[62:63], s[20:21], v[8:9]
	v_fma_f64 v[58:59], v[60:61], s[16:17], v[10:11]
	v_fma_f64 v[8:9], v[66:67], s[6:7], v[84:85]
	v_fma_f64 v[10:11], v[64:65], s[6:7], v[91:92]
	v_fma_f64 v[60:61], v[80:81], 2.0, -v[56:57]
	v_fma_f64 v[62:63], v[82:83], 2.0, -v[58:59]
	v_fma_f64 v[64:65], v[64:65], s[6:7], v[8:9]
	v_fma_f64 v[66:67], v[66:67], s[2:3], v[10:11]
	;; [unrolled: 1-line block ×4, first 2 shown]
	v_fma_f64 v[68:69], v[84:85], 2.0, -v[64:65]
	v_fma_f64 v[70:71], v[91:92], 2.0, -v[66:67]
	v_fma_f64 v[8:9], v[103:104], s[14:15], v[8:9]
	v_fma_f64 v[10:11], v[101:102], s[8:9], v[10:11]
	v_fma_f64 v[78:79], v[93:94], 2.0, -v[8:9]
	v_fma_f64 v[80:81], v[95:96], 2.0, -v[10:11]
	ds_write_b128 v24, v[16:19]
	ds_write_b128 v24, v[28:31] offset:48
	ds_write_b128 v24, v[36:39] offset:96
	;; [unrolled: 1-line block ×15, first 2 shown]
	s_waitcnt lgkmcnt(0)
	; wave barrier
	s_waitcnt lgkmcnt(0)
	ds_read_b128 v[28:31], v89
	ds_read_b128 v[68:71], v75 offset:2304
	ds_read_b128 v[64:67], v75 offset:4608
	;; [unrolled: 1-line block ×14, first 2 shown]
	s_and_saveexec_b64 s[2:3], vcc
	s_cbranch_execz .LBB0_23
; %bb.22:
	ds_read_b128 v[8:11], v75 offset:2160
	ds_read_b128 v[0:3], v75 offset:4464
	;; [unrolled: 1-line block ×3, first 2 shown]
.LBB0_23:
	s_or_b64 exec, exec, s[2:3]
	v_lshlrev_b32_e32 v100, 1, v74
	v_mov_b32_e32 v101, 0
	v_lshlrev_b64 v[78:79], 4, v[100:101]
	v_mov_b32_e32 v102, s13
	v_add_co_u32_e64 v78, s[2:3], s12, v78
	v_addc_co_u32_e64 v79, s[2:3], v102, v79, s[2:3]
	global_load_dwordx4 v[95:98], v[78:79], off offset:736
	global_load_dwordx4 v[82:85], v[78:79], off offset:720
	v_add_u32_e32 v94, 27, v74
	v_cmp_gt_u32_e64 s[2:3], 21, v74
	v_add_u32_e32 v100, 12, v100
	v_add_u32_e32 v93, 0x51, v74
	v_mov_b32_e32 v106, 5
	v_add_u32_e32 v92, 0x6c, v74
	v_add_u32_e32 v91, 0x87, v74
	s_mov_b32 s7, 0x3febb67a
	s_waitcnt vmcnt(0) lgkmcnt(13)
	v_mul_f64 v[80:81], v[70:71], v[84:85]
	v_fma_f64 v[80:81], v[68:69], v[82:83], v[80:81]
	v_mul_f64 v[68:69], v[68:69], v[84:85]
	v_fma_f64 v[70:71], v[70:71], v[82:83], -v[68:69]
	s_waitcnt lgkmcnt(12)
	v_mul_f64 v[68:69], v[66:67], v[97:98]
	v_fma_f64 v[82:83], v[64:65], v[95:96], v[68:69]
	v_mul_f64 v[64:65], v[64:65], v[97:98]
	v_fma_f64 v[84:85], v[66:67], v[95:96], -v[64:65]
	v_subrev_u32_e32 v64, 21, v74
	v_cndmask_b32_e64 v95, v64, v94, s[2:3]
	v_lshlrev_b32_e32 v64, 1, v95
	v_mov_b32_e32 v65, v101
	v_lshlrev_b64 v[64:65], 4, v[64:65]
	v_add_co_u32_e64 v64, s[2:3], s12, v64
	v_addc_co_u32_e64 v65, s[2:3], v102, v65, s[2:3]
	global_load_dwordx4 v[66:69], v[64:65], off offset:736
	global_load_dwordx4 v[96:99], v[64:65], off offset:720
	s_waitcnt vmcnt(0) lgkmcnt(10)
	v_mul_f64 v[64:65], v[58:59], v[98:99]
	v_fma_f64 v[64:65], v[56:57], v[96:97], v[64:65]
	v_mul_f64 v[56:57], v[56:57], v[98:99]
	v_fma_f64 v[56:57], v[58:59], v[96:97], -v[56:57]
	s_waitcnt lgkmcnt(9)
	v_mul_f64 v[58:59], v[62:63], v[68:69]
	v_fma_f64 v[58:59], v[60:61], v[66:67], v[58:59]
	v_mul_f64 v[60:61], v[60:61], v[68:69]
	v_fma_f64 v[60:61], v[62:63], v[66:67], -v[60:61]
	v_lshlrev_b64 v[62:63], 4, v[100:101]
	v_add_co_u32_e64 v62, s[2:3], s12, v62
	v_addc_co_u32_e64 v63, s[2:3], v102, v63, s[2:3]
	global_load_dwordx4 v[66:69], v[62:63], off offset:736
	global_load_dwordx4 v[96:99], v[62:63], off offset:720
	s_mov_b32 s2, 0xe8584caa
	s_mov_b32 s3, 0xbfebb67a
	;; [unrolled: 1-line block ×3, first 2 shown]
	s_waitcnt vmcnt(0) lgkmcnt(7)
	v_mul_f64 v[62:63], v[54:55], v[98:99]
	v_fma_f64 v[62:63], v[52:53], v[96:97], v[62:63]
	v_mul_f64 v[52:53], v[52:53], v[98:99]
	v_fma_f64 v[52:53], v[54:55], v[96:97], -v[52:53]
	s_waitcnt lgkmcnt(6)
	v_mul_f64 v[54:55], v[50:51], v[68:69]
	v_fma_f64 v[54:55], v[48:49], v[66:67], v[54:55]
	v_mul_f64 v[48:49], v[48:49], v[68:69]
	v_fma_f64 v[48:49], v[50:51], v[66:67], -v[48:49]
	v_mul_lo_u16_sdwa v50, v93, s18 dst_sel:DWORD dst_unused:UNUSED_PAD src0_sel:BYTE_0 src1_sel:DWORD
	v_lshrrev_b16_e32 v96, 13, v50
	v_mul_lo_u16_e32 v50, 48, v96
	v_sub_u16_e32 v97, v93, v50
	v_lshlrev_b32_sdwa v50, v106, v97 dst_sel:DWORD dst_unused:UNUSED_PAD src0_sel:DWORD src1_sel:BYTE_0
	global_load_dwordx4 v[98:101], v50, s[12:13] offset:736
	global_load_dwordx4 v[66:69], v50, s[12:13] offset:720
	s_waitcnt vmcnt(0) lgkmcnt(4)
	v_mul_f64 v[50:51], v[42:43], v[68:69]
	v_fma_f64 v[50:51], v[40:41], v[66:67], v[50:51]
	v_mul_f64 v[40:41], v[40:41], v[68:69]
	v_fma_f64 v[66:67], v[42:43], v[66:67], -v[40:41]
	s_waitcnt lgkmcnt(3)
	v_mul_f64 v[40:41], v[46:47], v[100:101]
	v_fma_f64 v[68:69], v[44:45], v[98:99], v[40:41]
	v_mul_f64 v[40:41], v[44:45], v[100:101]
	v_fma_f64 v[44:45], v[46:47], v[98:99], -v[40:41]
	v_mul_lo_u16_sdwa v40, v92, s18 dst_sel:DWORD dst_unused:UNUSED_PAD src0_sel:BYTE_0 src1_sel:DWORD
	v_lshrrev_b16_e32 v40, 13, v40
	v_mul_lo_u16_e32 v40, 48, v40
	v_sub_u16_e32 v46, v92, v40
	v_lshlrev_b32_sdwa v40, v106, v46 dst_sel:DWORD dst_unused:UNUSED_PAD src0_sel:DWORD src1_sel:BYTE_0
	global_load_dwordx4 v[98:101], v40, s[12:13] offset:736
	global_load_dwordx4 v[102:105], v40, s[12:13] offset:720
	;; [unrolled: 17-line block ×3, first 2 shown]
	s_waitcnt lgkmcnt(0)
	; wave barrier
	s_waitcnt vmcnt(0)
	v_mul_f64 v[102:103], v[2:3], v[100:101]
	v_fma_f64 v[110:111], v[0:1], v[98:99], v[102:103]
	v_mul_f64 v[0:1], v[0:1], v[100:101]
	v_fma_f64 v[112:113], v[2:3], v[98:99], -v[0:1]
	v_mul_f64 v[0:1], v[6:7], v[34:35]
	v_add_f64 v[2:3], v[70:71], -v[84:85]
	v_fma_f64 v[114:115], v[4:5], v[32:33], v[0:1]
	v_mul_f64 v[0:1], v[4:5], v[34:35]
	v_fma_f64 v[6:7], v[6:7], v[32:33], -v[0:1]
	v_add_f64 v[0:1], v[28:29], v[80:81]
	v_add_f64 v[32:33], v[0:1], v[82:83]
	;; [unrolled: 1-line block ×3, first 2 shown]
	v_fma_f64 v[0:1], v[0:1], -0.5, v[28:29]
	v_fma_f64 v[28:29], v[2:3], s[2:3], v[0:1]
	v_fma_f64 v[98:99], v[2:3], s[6:7], v[0:1]
	v_add_f64 v[0:1], v[30:31], v[70:71]
	v_add_f64 v[2:3], v[80:81], -v[82:83]
	v_add_f64 v[34:35], v[0:1], v[84:85]
	v_add_f64 v[0:1], v[70:71], v[84:85]
	v_fma_f64 v[0:1], v[0:1], -0.5, v[30:31]
	v_fma_f64 v[30:31], v[2:3], s[6:7], v[0:1]
	v_fma_f64 v[100:101], v[2:3], s[2:3], v[0:1]
	v_add_f64 v[0:1], v[24:25], v[64:65]
	v_add_f64 v[2:3], v[56:57], -v[60:61]
	ds_write_b128 v75, v[32:35]
	ds_write_b128 v75, v[28:31] offset:768
	ds_write_b128 v75, v[98:101] offset:1536
	v_add_f64 v[80:81], v[0:1], v[58:59]
	v_add_f64 v[0:1], v[64:65], v[58:59]
	v_fma_f64 v[0:1], v[0:1], -0.5, v[24:25]
	v_fma_f64 v[24:25], v[2:3], s[2:3], v[0:1]
	v_fma_f64 v[102:103], v[2:3], s[6:7], v[0:1]
	v_add_f64 v[0:1], v[26:27], v[56:57]
	v_add_f64 v[2:3], v[64:65], -v[58:59]
	v_add_f64 v[82:83], v[0:1], v[60:61]
	v_add_f64 v[0:1], v[56:57], v[60:61]
	v_fma_f64 v[0:1], v[0:1], -0.5, v[26:27]
	v_fma_f64 v[26:27], v[2:3], s[6:7], v[0:1]
	v_fma_f64 v[104:105], v[2:3], s[2:3], v[0:1]
	v_add_f64 v[0:1], v[20:21], v[62:63]
	v_add_f64 v[2:3], v[52:53], -v[48:49]
	;; [unrolled: 7-line block ×6, first 2 shown]
	v_add_f64 v[64:65], v[0:1], v[38:39]
	v_add_f64 v[0:1], v[40:41], v[38:39]
	v_fma_f64 v[0:1], v[0:1], -0.5, v[12:13]
	v_add_f64 v[12:13], v[110:111], -v[114:115]
	v_fma_f64 v[68:69], v[2:3], s[2:3], v[0:1]
	v_fma_f64 v[106:107], v[2:3], s[6:7], v[0:1]
	v_add_f64 v[0:1], v[14:15], v[36:37]
	v_add_f64 v[2:3], v[40:41], -v[38:39]
	v_add_f64 v[66:67], v[0:1], v[42:43]
	v_add_f64 v[0:1], v[36:37], v[42:43]
	v_fma_f64 v[0:1], v[0:1], -0.5, v[14:15]
	v_fma_f64 v[70:71], v[2:3], s[6:7], v[0:1]
	v_fma_f64 v[108:109], v[2:3], s[2:3], v[0:1]
	v_add_f64 v[2:3], v[110:111], v[114:115]
	v_add_f64 v[0:1], v[8:9], v[110:111]
	v_fma_f64 v[2:3], v[2:3], -0.5, v[8:9]
	v_add_f64 v[8:9], v[112:113], -v[6:7]
	v_add_f64 v[0:1], v[0:1], v[114:115]
	v_fma_f64 v[4:5], v[8:9], s[2:3], v[2:3]
	v_fma_f64 v[8:9], v[8:9], s[6:7], v[2:3]
	v_add_f64 v[2:3], v[10:11], v[112:113]
	v_add_f64 v[2:3], v[2:3], v[6:7]
	;; [unrolled: 1-line block ×3, first 2 shown]
	v_fma_f64 v[10:11], v[6:7], -0.5, v[10:11]
	v_fma_f64 v[6:7], v[12:13], s[6:7], v[10:11]
	v_fma_f64 v[10:11], v[12:13], s[2:3], v[10:11]
	v_cmp_lt_u32_e64 s[2:3], 20, v74
	v_mov_b32_e32 v12, 0x900
	v_cndmask_b32_e64 v12, 0, v12, s[2:3]
	v_add_u32_e32 v12, 0, v12
	v_lshlrev_b32_e32 v13, 4, v95
	v_add3_u32 v12, v12, v13, v88
	s_movk_i32 s6, 0x900
	ds_write_b128 v12, v[80:83]
	ds_write_b128 v12, v[24:27] offset:768
	ds_write_b128 v12, v[102:105] offset:1536
	;; [unrolled: 1-line block ×5, first 2 shown]
	v_mov_b32_e32 v12, 4
	v_mad_u32_u24 v13, v96, s6, 0
	v_lshlrev_b32_sdwa v14, v12, v97 dst_sel:DWORD dst_unused:UNUSED_PAD src0_sel:DWORD src1_sel:BYTE_0
	v_add3_u32 v13, v13, v14, v88
	ds_write_b128 v13, v[52:55]
	ds_write_b128 v13, v[16:19] offset:768
	ds_write_b128 v13, v[48:51] offset:1536
	v_lshlrev_b32_sdwa v13, v12, v46 dst_sel:DWORD dst_unused:UNUSED_PAD src0_sel:DWORD src1_sel:BYTE_0
	v_add3_u32 v13, 0, v13, v88
	ds_write_b128 v13, v[64:67] offset:4608
	ds_write_b128 v13, v[68:71] offset:5376
	;; [unrolled: 1-line block ×3, first 2 shown]
	s_and_saveexec_b64 s[2:3], vcc
	s_cbranch_execz .LBB0_25
; %bb.24:
	v_lshlrev_b32_sdwa v12, v12, v47 dst_sel:DWORD dst_unused:UNUSED_PAD src0_sel:DWORD src1_sel:BYTE_0
	v_add3_u32 v12, 0, v12, v88
	ds_write_b128 v12, v[0:3] offset:4608
	ds_write_b128 v12, v[4:7] offset:5376
	;; [unrolled: 1-line block ×3, first 2 shown]
.LBB0_25:
	s_or_b64 exec, exec, s[2:3]
	s_waitcnt lgkmcnt(0)
	; wave barrier
	s_waitcnt lgkmcnt(0)
	ds_read_b128 v[28:31], v89
	ds_read_b128 v[24:27], v75 offset:432
	ds_read_b128 v[64:67], v75 offset:4608
	;; [unrolled: 1-line block ×14, first 2 shown]
	s_and_saveexec_b64 s[2:3], vcc
	s_cbranch_execz .LBB0_27
; %bb.26:
	ds_read_b128 v[0:3], v75 offset:2160
	ds_read_b128 v[4:7], v75 offset:4464
	;; [unrolled: 1-line block ×3, first 2 shown]
.LBB0_27:
	s_or_b64 exec, exec, s[2:3]
	v_lshl_add_u32 v80, v87, 4, v90
	global_load_dwordx4 v[81:84], v[78:79], off offset:2272
	global_load_dwordx4 v[87:90], v[78:79], off offset:2256
	v_mov_b32_e32 v85, s13
	s_waitcnt vmcnt(0) lgkmcnt(4)
	v_mul_f64 v[78:79], v[70:71], v[89:90]
	v_fma_f64 v[78:79], v[68:69], v[87:88], v[78:79]
	v_mul_f64 v[68:69], v[68:69], v[89:90]
	v_fma_f64 v[70:71], v[70:71], v[87:88], -v[68:69]
	v_mul_f64 v[68:69], v[66:67], v[83:84]
	v_fma_f64 v[87:88], v[64:65], v[81:82], v[68:69]
	v_mul_f64 v[64:65], v[64:65], v[83:84]
	v_fma_f64 v[89:90], v[66:67], v[81:82], -v[64:65]
	v_lshlrev_b32_e32 v64, 1, v94
	v_mov_b32_e32 v65, 0
	v_lshlrev_b64 v[66:67], 4, v[64:65]
	v_add_co_u32_e64 v94, s[2:3], s12, v66
	v_addc_co_u32_e64 v95, s[2:3], v85, v67, s[2:3]
	global_load_dwordx4 v[66:69], v[94:95], off offset:2272
	global_load_dwordx4 v[81:84], v[94:95], off offset:2256
	s_waitcnt vmcnt(0)
	v_mul_f64 v[94:95], v[62:63], v[83:84]
	v_fma_f64 v[94:95], v[60:61], v[81:82], v[94:95]
	v_mul_f64 v[60:61], v[60:61], v[83:84]
	v_fma_f64 v[81:82], v[62:63], v[81:82], -v[60:61]
	v_mul_f64 v[60:61], v[58:59], v[68:69]
	v_fma_f64 v[83:84], v[56:57], v[66:67], v[60:61]
	v_mul_f64 v[56:57], v[56:57], v[68:69]
	v_fma_f64 v[66:67], v[58:59], v[66:67], -v[56:57]
	v_mov_b32_e32 v56, 0x6c
	v_lshl_add_u32 v64, v74, 1, v56
	v_lshlrev_b64 v[56:57], 4, v[64:65]
	v_lshlrev_b32_e32 v64, 1, v93
	v_add_co_u32_e64 v68, s[2:3], s12, v56
	v_addc_co_u32_e64 v69, s[2:3], v85, v57, s[2:3]
	global_load_dwordx4 v[56:59], v[68:69], off offset:2272
	global_load_dwordx4 v[60:63], v[68:69], off offset:2256
	s_waitcnt vmcnt(0)
	v_mul_f64 v[68:69], v[50:51], v[62:63]
	v_fma_f64 v[68:69], v[48:49], v[60:61], v[68:69]
	v_mul_f64 v[48:49], v[48:49], v[62:63]
	v_fma_f64 v[60:61], v[50:51], v[60:61], -v[48:49]
	v_mul_f64 v[48:49], v[54:55], v[58:59]
	v_fma_f64 v[62:63], v[52:53], v[56:57], v[48:49]
	v_mul_f64 v[48:49], v[52:53], v[58:59]
	v_fma_f64 v[56:57], v[54:55], v[56:57], -v[48:49]
	v_lshlrev_b64 v[48:49], 4, v[64:65]
	v_lshlrev_b32_e32 v64, 1, v92
	v_add_co_u32_e64 v58, s[2:3], s12, v48
	v_addc_co_u32_e64 v59, s[2:3], v85, v49, s[2:3]
	global_load_dwordx4 v[48:51], v[58:59], off offset:2272
	global_load_dwordx4 v[52:55], v[58:59], off offset:2256
	s_waitcnt vmcnt(0) lgkmcnt(2)
	v_mul_f64 v[58:59], v[46:47], v[54:55]
	v_fma_f64 v[96:97], v[44:45], v[52:53], v[58:59]
	v_mul_f64 v[44:45], v[44:45], v[54:55]
	v_add_f64 v[54:55], v[60:61], v[56:57]
	v_fma_f64 v[98:99], v[46:47], v[52:53], -v[44:45]
	v_mul_f64 v[44:45], v[42:43], v[50:51]
	v_add_f64 v[52:53], v[60:61], -v[56:57]
	v_fma_f64 v[54:55], v[54:55], -0.5, v[22:23]
	v_fma_f64 v[100:101], v[40:41], v[48:49], v[44:45]
	v_mul_f64 v[40:41], v[40:41], v[50:51]
	v_add_f64 v[50:51], v[68:69], v[62:63]
	v_add_f64 v[58:59], v[96:97], v[100:101]
	v_fma_f64 v[102:103], v[42:43], v[48:49], -v[40:41]
	v_lshlrev_b64 v[40:41], 4, v[64:65]
	v_fma_f64 v[50:51], v[50:51], -0.5, v[20:21]
	v_add_co_u32_e64 v48, s[2:3], s12, v40
	v_addc_co_u32_e64 v49, s[2:3], v85, v41, s[2:3]
	global_load_dwordx4 v[40:43], v[48:49], off offset:2272
	global_load_dwordx4 v[44:47], v[48:49], off offset:2256
	s_mov_b32 s2, 0xe8584caa
	s_mov_b32 s3, 0xbfebb67a
	;; [unrolled: 1-line block ×3, first 2 shown]
	v_fma_f64 v[58:59], v[58:59], -0.5, v[16:17]
	s_waitcnt lgkmcnt(0)
	; wave barrier
	s_waitcnt vmcnt(0) lgkmcnt(0)
	v_mul_f64 v[48:49], v[38:39], v[46:47]
	v_fma_f64 v[92:93], v[36:37], v[44:45], v[48:49]
	v_mul_f64 v[36:37], v[36:37], v[46:47]
	v_add_f64 v[46:47], v[81:82], v[66:67]
	v_add_f64 v[48:49], v[94:95], -v[83:84]
	v_fma_f64 v[104:105], v[38:39], v[44:45], -v[36:37]
	v_mul_f64 v[36:37], v[34:35], v[42:43]
	v_add_f64 v[38:39], v[70:71], v[89:90]
	v_add_f64 v[44:45], v[81:82], -v[66:67]
	v_fma_f64 v[46:47], v[46:47], -0.5, v[26:27]
	v_fma_f64 v[106:107], v[32:33], v[40:41], v[36:37]
	v_mul_f64 v[32:33], v[32:33], v[42:43]
	v_add_f64 v[42:43], v[94:95], v[83:84]
	v_add_f64 v[36:37], v[70:71], -v[89:90]
	v_fma_f64 v[38:39], v[38:39], -0.5, v[30:31]
	v_fma_f64 v[108:109], v[34:35], v[40:41], -v[32:33]
	v_add_f64 v[34:35], v[78:79], v[87:88]
	v_add_f64 v[40:41], v[78:79], -v[87:88]
	v_fma_f64 v[42:43], v[42:43], -0.5, v[24:25]
	v_add_f64 v[32:33], v[28:29], v[78:79]
	v_add_f64 v[78:79], v[92:93], -v[106:107]
	v_fma_f64 v[34:35], v[34:35], -0.5, v[28:29]
	v_add_f64 v[32:33], v[32:33], v[87:88]
	v_fma_f64 v[28:29], v[36:37], s[2:3], v[34:35]
	v_fma_f64 v[36:37], v[36:37], s[6:7], v[34:35]
	v_add_f64 v[34:35], v[30:31], v[70:71]
	v_fma_f64 v[30:31], v[40:41], s[6:7], v[38:39]
	v_fma_f64 v[38:39], v[40:41], s[2:3], v[38:39]
	;; [unrolled: 3-line block ×5, first 2 shown]
	v_add_f64 v[50:51], v[22:23], v[60:61]
	v_add_f64 v[60:61], v[98:99], -v[102:103]
	v_add_f64 v[42:43], v[42:43], v[66:67]
	v_add_f64 v[66:67], v[96:97], -v[100:101]
	v_add_f64 v[70:71], v[104:105], -v[108:109]
	v_add_f64 v[48:49], v[48:49], v[62:63]
	v_add_f64 v[34:35], v[34:35], v[89:90]
	;; [unrolled: 1-line block ×4, first 2 shown]
	v_add_f64 v[56:57], v[68:69], -v[62:63]
	v_add_f64 v[62:63], v[98:99], v[102:103]
	v_add_f64 v[68:69], v[92:93], v[106:107]
	v_fma_f64 v[22:23], v[56:57], s[6:7], v[54:55]
	v_fma_f64 v[62:63], v[62:63], -0.5, v[18:19]
	v_fma_f64 v[68:69], v[68:69], -0.5, v[12:13]
	v_fma_f64 v[54:55], v[56:57], s[2:3], v[54:55]
	v_add_f64 v[56:57], v[16:17], v[96:97]
	v_fma_f64 v[16:17], v[60:61], s[2:3], v[58:59]
	v_fma_f64 v[60:61], v[60:61], s[6:7], v[58:59]
	v_add_f64 v[58:59], v[18:19], v[98:99]
	v_fma_f64 v[18:19], v[66:67], s[6:7], v[62:63]
	;; [unrolled: 3-line block ×3, first 2 shown]
	v_fma_f64 v[81:82], v[70:71], s[6:7], v[68:69]
	v_add_f64 v[70:71], v[104:105], v[108:109]
	v_add_f64 v[68:69], v[14:15], v[104:105]
	;; [unrolled: 1-line block ×5, first 2 shown]
	v_fma_f64 v[70:71], v[70:71], -0.5, v[14:15]
	v_add_f64 v[68:69], v[68:69], v[108:109]
	v_fma_f64 v[14:15], v[78:79], s[6:7], v[70:71]
	v_fma_f64 v[83:84], v[78:79], s[2:3], v[70:71]
	ds_write_b128 v75, v[32:35]
	ds_write_b128 v75, v[28:31] offset:2304
	ds_write_b128 v75, v[36:39] offset:4608
	;; [unrolled: 1-line block ×14, first 2 shown]
	s_and_saveexec_b64 s[8:9], vcc
	s_cbranch_execz .LBB0_29
; %bb.28:
	v_add_u32_e32 v12, -9, v74
	v_cndmask_b32_e32 v12, v12, v91, vcc
	v_lshlrev_b32_e32 v64, 1, v12
	v_lshlrev_b64 v[12:13], 4, v[64:65]
	v_mov_b32_e32 v14, s13
	v_add_co_u32_e32 v20, vcc, s12, v12
	v_addc_co_u32_e32 v21, vcc, v14, v13, vcc
	global_load_dwordx4 v[12:15], v[20:21], off offset:2256
	global_load_dwordx4 v[16:19], v[20:21], off offset:2272
	s_waitcnt vmcnt(1)
	v_mul_f64 v[20:21], v[4:5], v[14:15]
	s_waitcnt vmcnt(0)
	v_mul_f64 v[22:23], v[8:9], v[18:19]
	v_mul_f64 v[14:15], v[6:7], v[14:15]
	;; [unrolled: 1-line block ×3, first 2 shown]
	v_fma_f64 v[6:7], v[6:7], v[12:13], -v[20:21]
	v_fma_f64 v[10:11], v[10:11], v[16:17], -v[22:23]
	v_fma_f64 v[4:5], v[4:5], v[12:13], v[14:15]
	v_fma_f64 v[8:9], v[8:9], v[16:17], v[18:19]
	v_add_f64 v[18:19], v[2:3], v[6:7]
	v_add_f64 v[12:13], v[6:7], v[10:11]
	v_add_f64 v[20:21], v[6:7], -v[10:11]
	v_add_f64 v[14:15], v[4:5], v[8:9]
	v_add_f64 v[16:17], v[4:5], -v[8:9]
	v_add_f64 v[4:5], v[0:1], v[4:5]
	v_fma_f64 v[12:13], v[12:13], -0.5, v[2:3]
	v_add_f64 v[2:3], v[18:19], v[10:11]
	v_fma_f64 v[14:15], v[14:15], -0.5, v[0:1]
	v_add_f64 v[0:1], v[4:5], v[8:9]
	v_fma_f64 v[10:11], v[16:17], s[6:7], v[12:13]
	v_fma_f64 v[6:7], v[16:17], s[2:3], v[12:13]
	;; [unrolled: 1-line block ×4, first 2 shown]
	ds_write_b128 v75, v[0:3] offset:2160
	ds_write_b128 v75, v[8:11] offset:4464
	;; [unrolled: 1-line block ×3, first 2 shown]
.LBB0_29:
	s_or_b64 exec, exec, s[8:9]
	s_waitcnt lgkmcnt(0)
	; wave barrier
	s_waitcnt lgkmcnt(0)
	s_and_saveexec_b64 s[2:3], s[0:1]
	s_cbranch_execz .LBB0_31
; %bb.30:
	v_mul_lo_u32 v0, s5, v76
	v_mul_lo_u32 v1, s4, v77
	v_mad_u64_u32 v[4:5], s[0:1], s4, v76, 0
	v_mov_b32_e32 v6, s11
	v_lshl_add_u32 v10, v74, 4, v86
	v_add3_u32 v5, v5, v1, v0
	v_lshlrev_b64 v[4:5], 4, v[4:5]
	v_mov_b32_e32 v75, 0
	v_add_co_u32_e32 v7, vcc, s10, v4
	v_addc_co_u32_e32 v6, vcc, v6, v5, vcc
	v_lshlrev_b64 v[4:5], 4, v[72:73]
	ds_read_b128 v[0:3], v10
	v_add_co_u32_e32 v11, vcc, v7, v4
	v_addc_co_u32_e32 v12, vcc, v6, v5, vcc
	v_lshlrev_b64 v[4:5], 4, v[74:75]
	v_add_co_u32_e32 v8, vcc, v11, v4
	v_addc_co_u32_e32 v9, vcc, v12, v5, vcc
	ds_read_b128 v[4:7], v10 offset:432
	s_waitcnt lgkmcnt(1)
	global_store_dwordx4 v[8:9], v[0:3], off
	s_nop 0
	v_add_u32_e32 v0, 27, v74
	v_mov_b32_e32 v1, v75
	v_lshlrev_b64 v[0:1], 4, v[0:1]
	v_add_co_u32_e32 v0, vcc, v11, v0
	v_addc_co_u32_e32 v1, vcc, v12, v1, vcc
	s_waitcnt lgkmcnt(0)
	global_store_dwordx4 v[0:1], v[4:7], off
	ds_read_b128 v[0:3], v10 offset:864
	v_add_u32_e32 v4, 54, v74
	v_mov_b32_e32 v5, v75
	v_lshlrev_b64 v[4:5], 4, v[4:5]
	v_add_co_u32_e32 v8, vcc, v11, v4
	v_addc_co_u32_e32 v9, vcc, v12, v5, vcc
	ds_read_b128 v[4:7], v10 offset:1296
	s_waitcnt lgkmcnt(1)
	global_store_dwordx4 v[8:9], v[0:3], off
	s_nop 0
	v_add_u32_e32 v0, 0x51, v74
	v_mov_b32_e32 v1, v75
	v_lshlrev_b64 v[0:1], 4, v[0:1]
	v_add_co_u32_e32 v0, vcc, v11, v0
	v_addc_co_u32_e32 v1, vcc, v12, v1, vcc
	s_waitcnt lgkmcnt(0)
	global_store_dwordx4 v[0:1], v[4:7], off
	ds_read_b128 v[0:3], v10 offset:1728
	v_add_u32_e32 v4, 0x6c, v74
	v_mov_b32_e32 v5, v75
	v_lshlrev_b64 v[4:5], 4, v[4:5]
	v_add_co_u32_e32 v8, vcc, v11, v4
	v_addc_co_u32_e32 v9, vcc, v12, v5, vcc
	ds_read_b128 v[4:7], v10 offset:2160
	s_waitcnt lgkmcnt(1)
	global_store_dwordx4 v[8:9], v[0:3], off
	s_nop 0
	v_add_u32_e32 v0, 0x87, v74
	v_mov_b32_e32 v1, v75
	v_lshlrev_b64 v[0:1], 4, v[0:1]
	v_add_co_u32_e32 v0, vcc, v11, v0
	v_addc_co_u32_e32 v1, vcc, v12, v1, vcc
	s_waitcnt lgkmcnt(0)
	global_store_dwordx4 v[0:1], v[4:7], off
	ds_read_b128 v[0:3], v10 offset:2592
	v_add_u32_e32 v4, 0xa2, v74
	v_mov_b32_e32 v5, v75
	v_lshlrev_b64 v[4:5], 4, v[4:5]
	v_add_co_u32_e32 v8, vcc, v11, v4
	v_addc_co_u32_e32 v9, vcc, v12, v5, vcc
	ds_read_b128 v[4:7], v10 offset:3024
	s_waitcnt lgkmcnt(1)
	global_store_dwordx4 v[8:9], v[0:3], off
	s_nop 0
	v_add_u32_e32 v0, 0xbd, v74
	v_mov_b32_e32 v1, v75
	v_lshlrev_b64 v[0:1], 4, v[0:1]
	v_add_co_u32_e32 v0, vcc, v11, v0
	v_addc_co_u32_e32 v1, vcc, v12, v1, vcc
	s_waitcnt lgkmcnt(0)
	global_store_dwordx4 v[0:1], v[4:7], off
	ds_read_b128 v[0:3], v10 offset:3456
	v_add_u32_e32 v4, 0xd8, v74
	v_mov_b32_e32 v5, v75
	v_lshlrev_b64 v[4:5], 4, v[4:5]
	v_add_co_u32_e32 v8, vcc, v11, v4
	v_addc_co_u32_e32 v9, vcc, v12, v5, vcc
	ds_read_b128 v[4:7], v10 offset:3888
	s_waitcnt lgkmcnt(1)
	global_store_dwordx4 v[8:9], v[0:3], off
	s_nop 0
	v_add_u32_e32 v0, 0xf3, v74
	v_mov_b32_e32 v1, v75
	v_lshlrev_b64 v[0:1], 4, v[0:1]
	v_add_co_u32_e32 v0, vcc, v11, v0
	v_addc_co_u32_e32 v1, vcc, v12, v1, vcc
	s_waitcnt lgkmcnt(0)
	global_store_dwordx4 v[0:1], v[4:7], off
	ds_read_b128 v[0:3], v10 offset:4320
	v_add_u32_e32 v4, 0x10e, v74
	v_mov_b32_e32 v5, v75
	v_lshlrev_b64 v[4:5], 4, v[4:5]
	v_add_co_u32_e32 v8, vcc, v11, v4
	v_addc_co_u32_e32 v9, vcc, v12, v5, vcc
	ds_read_b128 v[4:7], v10 offset:4752
	s_waitcnt lgkmcnt(1)
	global_store_dwordx4 v[8:9], v[0:3], off
	s_nop 0
	v_add_u32_e32 v0, 0x129, v74
	v_mov_b32_e32 v1, v75
	v_lshlrev_b64 v[0:1], 4, v[0:1]
	v_add_co_u32_e32 v0, vcc, v11, v0
	v_addc_co_u32_e32 v1, vcc, v12, v1, vcc
	s_waitcnt lgkmcnt(0)
	global_store_dwordx4 v[0:1], v[4:7], off
	ds_read_b128 v[0:3], v10 offset:5184
	v_add_u32_e32 v4, 0x144, v74
	v_mov_b32_e32 v5, v75
	v_lshlrev_b64 v[4:5], 4, v[4:5]
	v_add_co_u32_e32 v8, vcc, v11, v4
	v_addc_co_u32_e32 v9, vcc, v12, v5, vcc
	ds_read_b128 v[4:7], v10 offset:5616
	s_waitcnt lgkmcnt(1)
	global_store_dwordx4 v[8:9], v[0:3], off
	s_nop 0
	v_add_u32_e32 v0, 0x15f, v74
	v_mov_b32_e32 v1, v75
	v_lshlrev_b64 v[0:1], 4, v[0:1]
	v_add_co_u32_e32 v0, vcc, v11, v0
	v_addc_co_u32_e32 v1, vcc, v12, v1, vcc
	s_waitcnt lgkmcnt(0)
	global_store_dwordx4 v[0:1], v[4:7], off
	ds_read_b128 v[0:3], v10 offset:6048
	v_add_u32_e32 v4, 0x17a, v74
	v_mov_b32_e32 v5, v75
	v_lshlrev_b64 v[4:5], 4, v[4:5]
	v_add_u32_e32 v74, 0x195, v74
	v_add_co_u32_e32 v8, vcc, v11, v4
	v_addc_co_u32_e32 v9, vcc, v12, v5, vcc
	ds_read_b128 v[4:7], v10 offset:6480
	s_waitcnt lgkmcnt(1)
	global_store_dwordx4 v[8:9], v[0:3], off
	s_nop 0
	v_lshlrev_b64 v[0:1], 4, v[74:75]
	v_add_co_u32_e32 v0, vcc, v11, v0
	v_addc_co_u32_e32 v1, vcc, v12, v1, vcc
	s_waitcnt lgkmcnt(0)
	global_store_dwordx4 v[0:1], v[4:7], off
.LBB0_31:
	s_endpgm
	.section	.rodata,"a",@progbits
	.p2align	6, 0x0
	.amdhsa_kernel fft_rtc_back_len432_factors_3_16_3_3_wgs_54_tpt_27_halfLds_dp_op_CI_CI_unitstride_sbrr_C2R_dirReg
		.amdhsa_group_segment_fixed_size 0
		.amdhsa_private_segment_fixed_size 0
		.amdhsa_kernarg_size 104
		.amdhsa_user_sgpr_count 6
		.amdhsa_user_sgpr_private_segment_buffer 1
		.amdhsa_user_sgpr_dispatch_ptr 0
		.amdhsa_user_sgpr_queue_ptr 0
		.amdhsa_user_sgpr_kernarg_segment_ptr 1
		.amdhsa_user_sgpr_dispatch_id 0
		.amdhsa_user_sgpr_flat_scratch_init 0
		.amdhsa_user_sgpr_private_segment_size 0
		.amdhsa_uses_dynamic_stack 0
		.amdhsa_system_sgpr_private_segment_wavefront_offset 0
		.amdhsa_system_sgpr_workgroup_id_x 1
		.amdhsa_system_sgpr_workgroup_id_y 0
		.amdhsa_system_sgpr_workgroup_id_z 0
		.amdhsa_system_sgpr_workgroup_info 0
		.amdhsa_system_vgpr_workitem_id 0
		.amdhsa_next_free_vgpr 116
		.amdhsa_next_free_sgpr 28
		.amdhsa_reserve_vcc 1
		.amdhsa_reserve_flat_scratch 0
		.amdhsa_float_round_mode_32 0
		.amdhsa_float_round_mode_16_64 0
		.amdhsa_float_denorm_mode_32 3
		.amdhsa_float_denorm_mode_16_64 3
		.amdhsa_dx10_clamp 1
		.amdhsa_ieee_mode 1
		.amdhsa_fp16_overflow 0
		.amdhsa_exception_fp_ieee_invalid_op 0
		.amdhsa_exception_fp_denorm_src 0
		.amdhsa_exception_fp_ieee_div_zero 0
		.amdhsa_exception_fp_ieee_overflow 0
		.amdhsa_exception_fp_ieee_underflow 0
		.amdhsa_exception_fp_ieee_inexact 0
		.amdhsa_exception_int_div_zero 0
	.end_amdhsa_kernel
	.text
.Lfunc_end0:
	.size	fft_rtc_back_len432_factors_3_16_3_3_wgs_54_tpt_27_halfLds_dp_op_CI_CI_unitstride_sbrr_C2R_dirReg, .Lfunc_end0-fft_rtc_back_len432_factors_3_16_3_3_wgs_54_tpt_27_halfLds_dp_op_CI_CI_unitstride_sbrr_C2R_dirReg
                                        ; -- End function
	.section	.AMDGPU.csdata,"",@progbits
; Kernel info:
; codeLenInByte = 10900
; NumSgprs: 32
; NumVgprs: 116
; ScratchSize: 0
; MemoryBound: 0
; FloatMode: 240
; IeeeMode: 1
; LDSByteSize: 0 bytes/workgroup (compile time only)
; SGPRBlocks: 3
; VGPRBlocks: 28
; NumSGPRsForWavesPerEU: 32
; NumVGPRsForWavesPerEU: 116
; Occupancy: 2
; WaveLimiterHint : 1
; COMPUTE_PGM_RSRC2:SCRATCH_EN: 0
; COMPUTE_PGM_RSRC2:USER_SGPR: 6
; COMPUTE_PGM_RSRC2:TRAP_HANDLER: 0
; COMPUTE_PGM_RSRC2:TGID_X_EN: 1
; COMPUTE_PGM_RSRC2:TGID_Y_EN: 0
; COMPUTE_PGM_RSRC2:TGID_Z_EN: 0
; COMPUTE_PGM_RSRC2:TIDIG_COMP_CNT: 0
	.type	__hip_cuid_7d7ccf4a8c453427,@object ; @__hip_cuid_7d7ccf4a8c453427
	.section	.bss,"aw",@nobits
	.globl	__hip_cuid_7d7ccf4a8c453427
__hip_cuid_7d7ccf4a8c453427:
	.byte	0                               ; 0x0
	.size	__hip_cuid_7d7ccf4a8c453427, 1

	.ident	"AMD clang version 19.0.0git (https://github.com/RadeonOpenCompute/llvm-project roc-6.4.0 25133 c7fe45cf4b819c5991fe208aaa96edf142730f1d)"
	.section	".note.GNU-stack","",@progbits
	.addrsig
	.addrsig_sym __hip_cuid_7d7ccf4a8c453427
	.amdgpu_metadata
---
amdhsa.kernels:
  - .args:
      - .actual_access:  read_only
        .address_space:  global
        .offset:         0
        .size:           8
        .value_kind:     global_buffer
      - .offset:         8
        .size:           8
        .value_kind:     by_value
      - .actual_access:  read_only
        .address_space:  global
        .offset:         16
        .size:           8
        .value_kind:     global_buffer
      - .actual_access:  read_only
        .address_space:  global
        .offset:         24
        .size:           8
        .value_kind:     global_buffer
      - .actual_access:  read_only
        .address_space:  global
        .offset:         32
        .size:           8
        .value_kind:     global_buffer
      - .offset:         40
        .size:           8
        .value_kind:     by_value
      - .actual_access:  read_only
        .address_space:  global
        .offset:         48
        .size:           8
        .value_kind:     global_buffer
      - .actual_access:  read_only
        .address_space:  global
        .offset:         56
        .size:           8
        .value_kind:     global_buffer
      - .offset:         64
        .size:           4
        .value_kind:     by_value
      - .actual_access:  read_only
        .address_space:  global
        .offset:         72
        .size:           8
        .value_kind:     global_buffer
      - .actual_access:  read_only
        .address_space:  global
        .offset:         80
        .size:           8
        .value_kind:     global_buffer
      - .actual_access:  read_only
        .address_space:  global
        .offset:         88
        .size:           8
        .value_kind:     global_buffer
      - .actual_access:  write_only
        .address_space:  global
        .offset:         96
        .size:           8
        .value_kind:     global_buffer
    .group_segment_fixed_size: 0
    .kernarg_segment_align: 8
    .kernarg_segment_size: 104
    .language:       OpenCL C
    .language_version:
      - 2
      - 0
    .max_flat_workgroup_size: 54
    .name:           fft_rtc_back_len432_factors_3_16_3_3_wgs_54_tpt_27_halfLds_dp_op_CI_CI_unitstride_sbrr_C2R_dirReg
    .private_segment_fixed_size: 0
    .sgpr_count:     32
    .sgpr_spill_count: 0
    .symbol:         fft_rtc_back_len432_factors_3_16_3_3_wgs_54_tpt_27_halfLds_dp_op_CI_CI_unitstride_sbrr_C2R_dirReg.kd
    .uniform_work_group_size: 1
    .uses_dynamic_stack: false
    .vgpr_count:     116
    .vgpr_spill_count: 0
    .wavefront_size: 64
amdhsa.target:   amdgcn-amd-amdhsa--gfx906
amdhsa.version:
  - 1
  - 2
...

	.end_amdgpu_metadata
